;; amdgpu-corpus repo=ROCm/rocFFT kind=compiled arch=gfx1030 opt=O3
	.text
	.amdgcn_target "amdgcn-amd-amdhsa--gfx1030"
	.amdhsa_code_object_version 6
	.protected	fft_rtc_back_len26_factors_13_2_wgs_64_tpt_2_dim1_dp_op_CI_CI_unitstride_sbrr_R2C_dirReg ; -- Begin function fft_rtc_back_len26_factors_13_2_wgs_64_tpt_2_dim1_dp_op_CI_CI_unitstride_sbrr_R2C_dirReg
	.globl	fft_rtc_back_len26_factors_13_2_wgs_64_tpt_2_dim1_dp_op_CI_CI_unitstride_sbrr_R2C_dirReg
	.p2align	8
	.type	fft_rtc_back_len26_factors_13_2_wgs_64_tpt_2_dim1_dp_op_CI_CI_unitstride_sbrr_R2C_dirReg,@function
fft_rtc_back_len26_factors_13_2_wgs_64_tpt_2_dim1_dp_op_CI_CI_unitstride_sbrr_R2C_dirReg: ; @fft_rtc_back_len26_factors_13_2_wgs_64_tpt_2_dim1_dp_op_CI_CI_unitstride_sbrr_R2C_dirReg
; %bb.0:
	s_load_dwordx2 s[0:1], s[4:5], 0x20
	v_lshrrev_b32_e32 v1, 1, v0
	v_mov_b32_e32 v59, 0
	v_and_b32_e32 v56, 1, v0
                                        ; implicit-def: $vgpr64
                                        ; implicit-def: $vgpr66
                                        ; implicit-def: $vgpr62
                                        ; implicit-def: $vgpr60
	v_lshl_or_b32 v58, s6, 5, v1
	s_waitcnt lgkmcnt(0)
	v_cmp_gt_u64_e32 vcc_lo, s[0:1], v[58:59]
	v_cmp_le_u64_e64 s0, s[0:1], v[58:59]
                                        ; implicit-def: $vgpr59
	s_and_saveexec_b32 s1, s0
	s_xor_b32 s0, exec_lo, s1
; %bb.1:
	v_and_b32_e32 v56, 1, v0
	v_or_b32_e32 v64, 2, v56
	v_or_b32_e32 v66, 4, v56
	;; [unrolled: 1-line block ×5, first 2 shown]
; %bb.2:
	s_or_saveexec_b32 s1, s0
	s_clause 0x1
	s_load_dwordx2 s[2:3], s[4:5], 0x18
	s_load_dwordx2 s[6:7], s[4:5], 0x0
	v_mul_u32_u24_e32 v0, 27, v1
	v_lshlrev_b32_e32 v0, 4, v0
	s_xor_b32 exec_lo, exec_lo, s1
	s_cbranch_execz .LBB0_4
; %bb.3:
	s_clause 0x1
	s_load_dwordx2 s[8:9], s[4:5], 0x10
	s_load_dwordx2 s[10:11], s[4:5], 0x50
	v_lshlrev_b32_e32 v53, 4, v56
	v_or_b32_e32 v64, 2, v56
	v_or_b32_e32 v66, 4, v56
	;; [unrolled: 1-line block ×5, first 2 shown]
	s_waitcnt lgkmcnt(0)
	s_load_dwordx2 s[8:9], s[8:9], 0x8
	s_waitcnt lgkmcnt(0)
	v_mad_u64_u32 v[1:2], null, s8, v58, 0
	v_mad_u64_u32 v[2:3], null, s9, v58, v[2:3]
	v_lshlrev_b64 v[1:2], 4, v[1:2]
	v_add_co_u32 v1, s0, s10, v1
	v_add_co_ci_u32_e64 v2, s0, s11, v2, s0
	v_add_co_u32 v49, s0, v1, v53
	v_add_co_ci_u32_e64 v50, s0, 0, v2, s0
	v_add3_u32 v53, 0, v0, v53
	s_clause 0xc
	global_load_dwordx4 v[1:4], v[49:50], off
	global_load_dwordx4 v[5:8], v[49:50], off offset:32
	global_load_dwordx4 v[9:12], v[49:50], off offset:64
	;; [unrolled: 1-line block ×12, first 2 shown]
	s_waitcnt vmcnt(12)
	ds_write_b128 v53, v[1:4]
	s_waitcnt vmcnt(11)
	ds_write_b128 v53, v[5:8] offset:32
	s_waitcnt vmcnt(10)
	ds_write_b128 v53, v[9:12] offset:64
	;; [unrolled: 2-line block ×12, first 2 shown]
.LBB0_4:
	s_or_b32 exec_lo, exec_lo, s1
	v_add_nc_u32_e32 v75, 0, v0
	v_lshlrev_b32_e32 v77, 4, v56
	s_waitcnt lgkmcnt(0)
	s_load_dwordx2 s[8:9], s[2:3], 0x8
	s_waitcnt lgkmcnt(0)
	s_barrier
	buffer_gl0_inv
	v_add_nc_u32_e32 v76, v75, v77
	v_add3_u32 v78, 0, v77, v0
	s_mov_b32 s24, 0x4267c47c
	s_mov_b32 s28, 0xe00740e9
	ds_read_b128 v[0:3], v76
	ds_read_b128 v[8:11], v78 offset:32
	ds_read_b128 v[12:15], v78 offset:64
	;; [unrolled: 1-line block ×5, first 2 shown]
	s_mov_b32 s25, 0xbfddbe06
	s_mov_b32 s29, 0x3fec55a7
	;; [unrolled: 1-line block ×16, first 2 shown]
	s_waitcnt lgkmcnt(4)
	v_add_f64 v[16:17], v[0:1], v[8:9]
	v_add_f64 v[18:19], v[2:3], v[10:11]
	s_mov_b32 s3, 0xbfcea1e5
	s_waitcnt lgkmcnt(0)
	v_add_f64 v[40:41], v[14:15], v[81:82]
	v_add_f64 v[42:43], v[14:15], -v[81:82]
	s_mov_b32 s23, 0x3fe22d96
	s_mov_b32 s15, 0x3fbedb7d
	;; [unrolled: 1-line block ×7, first 2 shown]
	v_add_f64 v[34:35], v[12:13], v[79:80]
	v_add_f64 v[30:31], v[12:13], -v[79:80]
	s_mov_b32 s35, 0x3fea55e2
	s_mov_b32 s27, 0x3fefc445
	;; [unrolled: 1-line block ×8, first 2 shown]
	v_add_f64 v[16:17], v[16:17], v[12:13]
	v_add_f64 v[18:19], v[18:19], v[14:15]
	s_mov_b32 s42, s18
	v_mul_f64 v[46:47], v[40:41], s[22:23]
	v_mul_f64 v[48:49], v[42:43], s[12:13]
	s_mov_b32 s40, s2
	v_add_f64 v[20:21], v[16:17], v[4:5]
	v_add_f64 v[22:23], v[18:19], v[6:7]
	ds_read_b128 v[16:19], v78 offset:384
	ds_read_b128 v[67:70], v78 offset:192
	;; [unrolled: 1-line block ×7, first 2 shown]
	s_waitcnt lgkmcnt(0)
	s_barrier
	buffer_gl0_inv
	v_add_f64 v[44:45], v[10:11], -v[18:19]
	v_add_f64 v[24:25], v[20:21], v[50:51]
	v_add_f64 v[22:23], v[22:23], v[52:53]
	;; [unrolled: 1-line block ×4, first 2 shown]
	v_add_f64 v[97:98], v[8:9], -v[16:17]
	v_add_f64 v[26:27], v[6:7], v[85:86]
	v_add_f64 v[28:29], v[6:7], -v[85:86]
	v_add_f64 v[8:9], v[67:68], v[71:72]
	v_add_f64 v[14:15], v[69:70], v[73:74]
	v_add_f64 v[10:11], v[67:68], -v[71:72]
	v_add_f64 v[20:21], v[69:70], -v[73:74]
	v_add_f64 v[12:13], v[36:37], v[87:88]
	v_add_f64 v[32:33], v[38:39], -v[89:90]
	v_add_f64 v[141:142], v[52:53], v[93:94]
	v_add_f64 v[143:144], v[4:5], -v[83:84]
	v_mul_f64 v[101:102], v[44:45], s[24:25]
	v_add_f64 v[6:7], v[24:25], v[36:37]
	v_add_f64 v[99:100], v[22:23], v[38:39]
	v_mul_f64 v[103:104], v[54:55], s[28:29]
	v_mul_f64 v[105:106], v[44:45], s[12:13]
	;; [unrolled: 1-line block ×11, first 2 shown]
	v_add_f64 v[24:25], v[38:39], v[89:90]
	v_add_f64 v[22:23], v[36:37], -v[87:88]
	v_add_f64 v[36:37], v[52:53], -v[93:94]
	v_add_f64 v[38:39], v[4:5], v[83:84]
	v_mul_f64 v[44:45], v[28:29], s[10:11]
	v_mul_f64 v[145:146], v[26:27], s[14:15]
	v_fma_f64 v[4:5], v[30:31], s[34:35], v[46:47]
	v_add_f64 v[6:7], v[6:7], v[67:68]
	v_add_f64 v[67:68], v[99:100], v[69:70]
	v_fma_f64 v[69:70], v[95:96], s[28:29], v[101:102]
	v_fma_f64 v[99:100], v[97:98], s[38:39], v[103:104]
	v_fma_f64 v[101:102], v[95:96], s[28:29], -v[101:102]
	v_fma_f64 v[123:124], v[95:96], s[22:23], v[105:106]
	v_fma_f64 v[105:106], v[95:96], s[22:23], -v[105:106]
	;; [unrolled: 2-line block ×3, first 2 shown]
	v_fma_f64 v[127:128], v[95:96], s[20:21], v[109:110]
	v_fma_f64 v[103:104], v[97:98], s[24:25], v[103:104]
	v_fma_f64 v[109:110], v[95:96], s[20:21], -v[109:110]
	v_fma_f64 v[129:130], v[97:98], s[34:35], v[111:112]
	v_fma_f64 v[131:132], v[95:96], s[30:31], v[113:114]
	v_fma_f64 v[111:112], v[97:98], s[12:13], v[111:112]
	v_fma_f64 v[113:114], v[95:96], s[30:31], -v[113:114]
	v_fma_f64 v[133:134], v[97:98], s[26:27], v[115:116]
	;; [unrolled: 4-line block ×3, first 2 shown]
	v_fma_f64 v[119:120], v[97:98], s[0:1], v[119:120]
	v_add_f64 v[6:7], v[6:7], v[71:72]
	v_add_f64 v[71:72], v[67:68], v[73:74]
	v_fma_f64 v[73:74], v[97:98], s[42:43], v[121:122]
	v_fma_f64 v[121:122], v[97:98], s[18:19], v[121:122]
	;; [unrolled: 1-line block ×5, first 2 shown]
	v_add_f64 v[69:70], v[0:1], v[69:70]
	v_add_f64 v[99:100], v[2:3], v[99:100]
	;; [unrolled: 1-line block ×27, first 2 shown]
	v_fma_f64 v[6:7], v[38:39], s[14:15], v[44:45]
	v_add_f64 v[52:53], v[97:98], v[69:70]
	v_mul_f64 v[73:74], v[36:37], s[0:1]
	v_add_f64 v[69:70], v[50:51], -v[91:92]
	v_mul_f64 v[71:72], v[141:142], s[20:21]
	v_add_f64 v[4:5], v[4:5], v[99:100]
	v_fma_f64 v[87:88], v[143:144], s[26:27], v[145:146]
	v_mul_f64 v[50:51], v[24:25], s[30:31]
	v_add_f64 v[91:92], v[0:1], v[91:92]
	v_add_f64 v[93:94], v[2:3], v[93:94]
	;; [unrolled: 1-line block ×3, first 2 shown]
	v_fma_f64 v[89:90], v[54:55], s[20:21], v[73:74]
	v_mul_f64 v[52:53], v[32:33], s[18:19]
	v_fma_f64 v[2:3], v[69:70], s[36:37], v[71:72]
	v_add_f64 v[0:1], v[87:88], v[4:5]
	v_fma_f64 v[87:88], v[22:23], s[42:43], v[50:51]
	v_add_f64 v[83:84], v[91:92], v[83:84]
	v_mul_f64 v[91:92], v[42:43], s[2:3]
	v_add_f64 v[85:86], v[93:94], v[85:86]
	v_mul_f64 v[93:94], v[40:41], s[16:17]
	v_add_f64 v[4:5], v[89:90], v[6:7]
	v_fma_f64 v[6:7], v[12:13], s[30:31], v[52:53]
	v_mul_f64 v[89:90], v[40:41], s[20:21]
	v_add_f64 v[2:3], v[2:3], v[0:1]
	v_mul_f64 v[0:1], v[20:21], s[2:3]
	v_add_f64 v[79:80], v[83:84], v[79:80]
	v_fma_f64 v[97:98], v[34:35], s[16:17], v[91:92]
	v_fma_f64 v[91:92], v[34:35], s[16:17], -v[91:92]
	v_add_f64 v[81:82], v[85:86], v[81:82]
	v_fma_f64 v[99:100], v[30:31], s[40:41], v[93:94]
	v_add_f64 v[4:5], v[6:7], v[4:5]
	v_fma_f64 v[85:86], v[30:31], s[36:37], v[89:90]
	v_fma_f64 v[89:90], v[30:31], s[0:1], v[89:90]
	v_add_f64 v[6:7], v[87:88], v[2:3]
	v_fma_f64 v[2:3], v[8:9], s[16:17], v[0:1]
	v_fma_f64 v[93:94], v[30:31], s[2:3], v[93:94]
	v_fma_f64 v[0:1], v[8:9], s[16:17], -v[0:1]
	v_add_f64 v[16:17], v[79:80], v[16:17]
	v_add_f64 v[97:98], v[97:98], v[125:126]
	;; [unrolled: 1-line block ×8, first 2 shown]
	v_mul_f64 v[2:3], v[14:15], s[16:17]
	v_add_f64 v[93:94], v[93:94], v[115:116]
	v_mul_f64 v[115:116], v[26:27], s[28:29]
	v_fma_f64 v[87:88], v[10:11], s[40:41], v[2:3]
	v_fma_f64 v[2:3], v[10:11], s[2:3], v[2:3]
	v_add_f64 v[6:7], v[87:88], v[6:7]
	v_mul_f64 v[87:88], v[42:43], s[0:1]
	v_fma_f64 v[83:84], v[34:35], s[20:21], v[87:88]
	v_fma_f64 v[87:88], v[34:35], s[20:21], -v[87:88]
	v_add_f64 v[83:84], v[83:84], v[103:104]
	v_mul_f64 v[103:104], v[28:29], s[2:3]
	v_add_f64 v[87:88], v[87:88], v[105:106]
	v_mul_f64 v[105:106], v[26:27], s[16:17]
	v_fma_f64 v[107:108], v[38:39], s[16:17], v[103:104]
	v_fma_f64 v[103:104], v[38:39], s[16:17], -v[103:104]
	v_fma_f64 v[111:112], v[143:144], s[40:41], v[105:106]
	v_fma_f64 v[105:106], v[143:144], s[2:3], v[105:106]
	v_add_f64 v[83:84], v[107:108], v[83:84]
	v_mul_f64 v[107:108], v[28:29], s[36:37]
	v_add_f64 v[85:86], v[111:112], v[85:86]
	v_mul_f64 v[111:112], v[26:27], s[20:21]
	v_add_f64 v[87:88], v[103:104], v[87:88]
	v_add_f64 v[89:90], v[105:106], v[89:90]
	v_fma_f64 v[103:104], v[38:39], s[20:21], v[107:108]
	v_fma_f64 v[107:108], v[38:39], s[20:21], -v[107:108]
	v_fma_f64 v[105:106], v[143:144], s[0:1], v[111:112]
	v_fma_f64 v[111:112], v[143:144], s[36:37], v[111:112]
	v_add_f64 v[97:98], v[103:104], v[97:98]
	v_mul_f64 v[103:104], v[36:37], s[42:43]
	v_add_f64 v[99:100], v[105:106], v[99:100]
	v_mul_f64 v[105:106], v[141:142], s[30:31]
	v_add_f64 v[91:92], v[107:108], v[91:92]
	v_add_f64 v[93:94], v[111:112], v[93:94]
	;; [unrolled: 10-line block ×3, first 2 shown]
	v_fma_f64 v[103:104], v[54:55], s[28:29], v[107:108]
	v_fma_f64 v[107:108], v[54:55], s[28:29], -v[107:108]
	v_fma_f64 v[105:106], v[69:70], s[24:25], v[111:112]
	v_add_f64 v[97:98], v[103:104], v[97:98]
	v_mul_f64 v[103:104], v[32:33], s[26:27]
	v_add_f64 v[99:100], v[105:106], v[99:100]
	v_fma_f64 v[105:106], v[69:70], s[38:39], v[111:112]
	v_mul_f64 v[111:112], v[24:25], s[14:15]
	v_add_f64 v[91:92], v[107:108], v[91:92]
	v_fma_f64 v[107:108], v[12:13], s[14:15], v[103:104]
	v_fma_f64 v[103:104], v[12:13], s[14:15], -v[103:104]
	v_add_f64 v[93:94], v[105:106], v[93:94]
	v_fma_f64 v[105:106], v[22:23], s[10:11], v[111:112]
	v_add_f64 v[83:84], v[107:108], v[83:84]
	v_mul_f64 v[107:108], v[32:33], s[12:13]
	v_add_f64 v[87:88], v[103:104], v[87:88]
	v_add_f64 v[85:86], v[105:106], v[85:86]
	v_fma_f64 v[105:106], v[22:23], s[26:27], v[111:112]
	v_mul_f64 v[111:112], v[24:25], s[22:23]
	v_fma_f64 v[103:104], v[12:13], s[22:23], v[107:108]
	v_fma_f64 v[107:108], v[12:13], s[22:23], -v[107:108]
	v_add_f64 v[89:90], v[105:106], v[89:90]
	v_fma_f64 v[105:106], v[22:23], s[34:35], v[111:112]
	v_fma_f64 v[79:80], v[22:23], s[12:13], v[111:112]
	v_mul_f64 v[111:112], v[28:29], s[38:39]
	v_add_f64 v[97:98], v[103:104], v[97:98]
	v_mul_f64 v[103:104], v[42:43], s[42:43]
	v_add_f64 v[91:92], v[107:108], v[91:92]
	v_add_f64 v[99:100], v[105:106], v[99:100]
	v_mul_f64 v[105:106], v[40:41], s[30:31]
	v_add_f64 v[79:80], v[79:80], v[93:94]
	v_fma_f64 v[107:108], v[38:39], s[28:29], v[111:112]
	v_fma_f64 v[81:82], v[34:35], s[30:31], v[103:104]
	v_fma_f64 v[103:104], v[34:35], s[30:31], -v[103:104]
	v_fma_f64 v[93:94], v[30:31], s[18:19], v[105:106]
	v_fma_f64 v[105:106], v[30:31], s[42:43], v[105:106]
	v_add_f64 v[81:82], v[81:82], v[127:128]
	v_add_f64 v[103:104], v[103:104], v[109:110]
	v_fma_f64 v[109:110], v[38:39], s[28:29], -v[111:112]
	v_add_f64 v[93:94], v[93:94], v[117:118]
	v_mul_f64 v[117:118], v[36:37], s[10:11]
	v_add_f64 v[105:106], v[105:106], v[119:120]
	v_mul_f64 v[119:120], v[28:29], s[12:13]
	v_mul_f64 v[28:29], v[28:29], s[18:19]
	v_add_f64 v[81:82], v[107:108], v[81:82]
	v_fma_f64 v[107:108], v[143:144], s[24:25], v[115:116]
	v_add_f64 v[103:104], v[109:110], v[103:104]
	v_fma_f64 v[109:110], v[143:144], s[38:39], v[115:116]
	v_mul_f64 v[115:116], v[42:43], s[26:27]
	v_fma_f64 v[111:112], v[54:55], s[14:15], -v[117:118]
	v_mul_f64 v[42:43], v[42:43], s[38:39]
	v_add_f64 v[93:94], v[107:108], v[93:94]
	v_fma_f64 v[107:108], v[54:55], s[14:15], v[117:118]
	v_add_f64 v[105:106], v[109:110], v[105:106]
	v_fma_f64 v[109:110], v[34:35], s[14:15], v[115:116]
	v_add_f64 v[103:104], v[111:112], v[103:104]
	v_mul_f64 v[111:112], v[40:41], s[14:15]
	v_fma_f64 v[115:116], v[34:35], s[14:15], -v[115:116]
	v_mul_f64 v[40:41], v[40:41], s[28:29]
	v_add_f64 v[81:82], v[107:108], v[81:82]
	v_mul_f64 v[107:108], v[141:142], s[14:15]
	v_add_f64 v[109:110], v[109:110], v[131:132]
	v_fma_f64 v[131:132], v[38:39], s[30:31], v[28:29]
	v_fma_f64 v[117:118], v[30:31], s[10:11], v[111:112]
	;; [unrolled: 1-line block ×3, first 2 shown]
	v_add_f64 v[113:114], v[115:116], v[113:114]
	v_fma_f64 v[115:116], v[34:35], s[28:29], v[42:43]
	v_fma_f64 v[42:43], v[34:35], s[28:29], -v[42:43]
	v_fma_f64 v[34:35], v[34:35], s[22:23], -v[48:49]
	v_fma_f64 v[48:49], v[30:31], s[24:25], v[40:41]
	v_fma_f64 v[40:41], v[30:31], s[38:39], v[40:41]
	;; [unrolled: 1-line block ×3, first 2 shown]
	v_mul_f64 v[46:47], v[141:142], s[16:17]
	v_fma_f64 v[28:29], v[38:39], s[30:31], -v[28:29]
	v_fma_f64 v[123:124], v[69:70], s[26:27], v[107:108]
	v_fma_f64 v[107:108], v[69:70], s[10:11], v[107:108]
	v_add_f64 v[117:118], v[117:118], v[133:134]
	v_add_f64 v[111:112], v[111:112], v[121:122]
	v_mul_f64 v[121:122], v[36:37], s[40:41]
	v_add_f64 v[115:116], v[115:116], v[135:136]
	v_add_f64 v[42:43], v[42:43], v[95:96]
	;; [unrolled: 1-line block ×5, first 2 shown]
	v_mul_f64 v[36:37], v[36:37], s[34:35]
	v_mul_f64 v[133:134], v[141:142], s[22:23]
	v_add_f64 v[30:31], v[30:31], v[67:68]
	v_fma_f64 v[67:68], v[143:144], s[10:11], v[145:146]
	v_fma_f64 v[95:96], v[69:70], s[2:3], v[46:47]
	;; [unrolled: 1-line block ×3, first 2 shown]
	v_mul_f64 v[135:136], v[14:15], s[28:29]
	v_add_f64 v[93:94], v[123:124], v[93:94]
	v_mul_f64 v[123:124], v[32:33], s[40:41]
	v_add_f64 v[105:106], v[107:108], v[105:106]
	v_add_f64 v[115:116], v[131:132], v[115:116]
	;; [unrolled: 1-line block ×3, first 2 shown]
	v_mul_f64 v[42:43], v[24:25], s[28:29]
	v_add_f64 v[30:31], v[67:68], v[30:31]
	v_fma_f64 v[67:68], v[10:11], s[24:25], v[135:136]
	v_fma_f64 v[125:126], v[12:13], s[16:17], v[123:124]
	v_fma_f64 v[123:124], v[12:13], s[16:17], -v[123:124]
	v_add_f64 v[81:82], v[125:126], v[81:82]
	v_mul_f64 v[125:126], v[24:25], s[16:17]
	v_mul_f64 v[24:25], v[24:25], s[20:21]
	v_add_f64 v[103:104], v[123:124], v[103:104]
	v_fma_f64 v[127:128], v[22:23], s[2:3], v[125:126]
	v_fma_f64 v[125:126], v[22:23], s[40:41], v[125:126]
	v_add_f64 v[93:94], v[127:128], v[93:94]
	v_fma_f64 v[127:128], v[38:39], s[22:23], v[119:120]
	v_fma_f64 v[119:120], v[38:39], s[22:23], -v[119:120]
	v_fma_f64 v[38:39], v[38:39], s[14:15], -v[44:45]
	v_add_f64 v[105:106], v[125:126], v[105:106]
	v_add_f64 v[109:110], v[127:128], v[109:110]
	v_mul_f64 v[127:128], v[26:27], s[22:23]
	v_mul_f64 v[26:27], v[26:27], s[30:31]
	v_add_f64 v[34:35], v[38:39], v[34:35]
	v_fma_f64 v[38:39], v[69:70], s[12:13], v[133:134]
	v_fma_f64 v[129:130], v[143:144], s[34:35], v[127:128]
	v_fma_f64 v[101:102], v[143:144], s[12:13], v[127:128]
	v_fma_f64 v[44:45], v[143:144], s[42:43], v[26:27]
	v_fma_f64 v[26:27], v[143:144], s[18:19], v[26:27]
	v_mul_f64 v[127:128], v[20:21], s[38:39]
	v_add_f64 v[117:118], v[129:130], v[117:118]
	v_fma_f64 v[129:130], v[54:55], s[16:17], v[121:122]
	v_add_f64 v[101:102], v[101:102], v[111:112]
	v_add_f64 v[44:45], v[44:45], v[48:49]
	v_mul_f64 v[48:49], v[32:33], s[38:39]
	v_add_f64 v[26:27], v[26:27], v[40:41]
	v_fma_f64 v[40:41], v[54:55], s[22:23], v[36:37]
	v_fma_f64 v[36:37], v[54:55], s[22:23], -v[36:37]
	v_mul_f64 v[32:33], v[32:33], s[0:1]
	v_fma_f64 v[111:112], v[8:9], s[28:29], v[127:128]
	v_fma_f64 v[127:128], v[8:9], s[28:29], -v[127:128]
	v_add_f64 v[95:96], v[95:96], v[117:118]
	v_add_f64 v[107:108], v[129:130], v[109:110]
	;; [unrolled: 1-line block ×3, first 2 shown]
	v_fma_f64 v[119:120], v[54:55], s[16:17], -v[121:122]
	v_fma_f64 v[121:122], v[69:70], s[34:35], v[133:134]
	v_fma_f64 v[54:55], v[54:55], s[20:21], -v[73:74]
	v_fma_f64 v[69:70], v[69:70], s[0:1], v[71:72]
	v_mul_f64 v[113:114], v[20:21], s[18:19]
	v_mul_f64 v[117:118], v[14:15], s[30:31]
	v_add_f64 v[46:47], v[46:47], v[101:102]
	v_mul_f64 v[101:102], v[14:15], s[22:23]
	v_add_f64 v[40:41], v[40:41], v[115:116]
	v_fma_f64 v[115:116], v[12:13], s[28:29], v[48:49]
	v_add_f64 v[38:39], v[38:39], v[44:45]
	v_fma_f64 v[44:45], v[22:23], s[24:25], v[42:43]
	v_add_f64 v[28:29], v[36:37], v[28:29]
	v_mul_f64 v[36:37], v[20:21], s[0:1]
	v_fma_f64 v[48:49], v[12:13], s[28:29], -v[48:49]
	v_fma_f64 v[42:43], v[22:23], s[38:39], v[42:43]
	v_fma_f64 v[129:130], v[10:11], s[38:39], v[135:136]
	v_add_f64 v[109:110], v[119:120], v[109:110]
	v_mul_f64 v[119:120], v[20:21], s[34:35]
	v_add_f64 v[26:27], v[121:122], v[26:27]
	v_mul_f64 v[121:122], v[14:15], s[20:21]
	v_add_f64 v[34:35], v[54:55], v[34:35]
	v_fma_f64 v[54:55], v[12:13], s[20:21], v[32:33]
	v_add_f64 v[30:31], v[69:70], v[30:31]
	v_fma_f64 v[69:70], v[22:23], s[36:37], v[24:25]
	v_mul_f64 v[20:21], v[20:21], s[26:27]
	v_mul_f64 v[14:15], v[14:15], s[14:15]
	v_fma_f64 v[32:33], v[12:13], s[20:21], -v[32:33]
	v_fma_f64 v[24:25], v[22:23], s[0:1], v[24:25]
	v_fma_f64 v[12:13], v[12:13], s[30:31], -v[52:53]
	v_fma_f64 v[22:23], v[22:23], s[18:19], v[50:51]
	v_fma_f64 v[73:74], v[8:9], s[30:31], v[113:114]
	;; [unrolled: 1-line block ×4, first 2 shown]
	v_add_f64 v[107:108], v[115:116], v[107:108]
	v_add_f64 v[44:45], v[44:45], v[95:96]
	v_fma_f64 v[95:96], v[8:9], s[20:21], v[36:37]
	v_add_f64 v[42:43], v[42:43], v[46:47]
	v_fma_f64 v[46:47], v[8:9], s[20:21], -v[36:37]
	v_add_f64 v[48:49], v[48:49], v[109:110]
	v_fma_f64 v[52:53], v[8:9], s[22:23], v[119:120]
	v_fma_f64 v[119:120], v[8:9], s[22:23], -v[119:120]
	v_fma_f64 v[115:116], v[10:11], s[36:37], v[121:122]
	v_fma_f64 v[121:122], v[10:11], s[0:1], v[121:122]
	v_add_f64 v[54:55], v[54:55], v[40:41]
	v_fma_f64 v[101:102], v[10:11], s[34:35], v[101:102]
	v_add_f64 v[69:70], v[69:70], v[38:39]
	v_fma_f64 v[109:110], v[8:9], s[14:15], v[20:21]
	v_fma_f64 v[123:124], v[10:11], s[10:11], v[14:15]
	v_add_f64 v[125:126], v[32:33], v[28:29]
	v_add_f64 v[26:27], v[24:25], v[26:27]
	v_fma_f64 v[131:132], v[8:9], s[14:15], -v[20:21]
	v_fma_f64 v[133:134], v[10:11], s[26:27], v[14:15]
	v_fma_f64 v[113:114], v[8:9], s[30:31], -v[113:114]
	v_fma_f64 v[117:118], v[10:11], s[18:19], v[117:118]
	v_add_f64 v[135:136], v[12:13], v[34:35]
	v_add_f64 v[137:138], v[22:23], v[30:31]
	v_add_f64 v[8:9], v[111:112], v[83:84]
	v_add_f64 v[10:11], v[67:68], v[85:86]
	v_add_f64 v[20:21], v[73:74], v[97:98]
	v_add_f64 v[22:23], v[71:72], v[99:100]
	v_add_f64 v[30:31], v[50:51], v[93:94]
	v_add_f64 v[28:29], v[52:53], v[81:82]
	v_add_f64 v[36:37], v[95:96], v[107:108]
	v_add_f64 v[38:39], v[115:116], v[44:45]
	v_add_f64 v[40:41], v[46:47], v[48:49]
	v_add_f64 v[42:43], v[121:122], v[42:43]
	v_add_f64 v[32:33], v[119:120], v[103:104]
	v_add_f64 v[34:35], v[101:102], v[105:106]
	v_add_f64 v[44:45], v[109:110], v[54:55]
	v_add_f64 v[46:47], v[123:124], v[69:70]
	v_add_f64 v[12:13], v[127:128], v[87:88]
	v_add_f64 v[14:15], v[129:130], v[89:90]
	v_add_f64 v[48:49], v[131:132], v[125:126]
	v_add_f64 v[50:51], v[133:134], v[26:27]
	v_add_f64 v[24:25], v[113:114], v[91:92]
	v_add_f64 v[26:27], v[117:118], v[79:80]
	v_add_f64 v[0:1], v[0:1], v[135:136]
	v_add_f64 v[2:3], v[2:3], v[137:138]
	v_mad_u32_u24 v52, 0xd0, v56, v75
	v_lshl_add_u32 v79, v66, 4, v75
	v_lshl_add_u32 v74, v62, 4, v75
	;; [unrolled: 1-line block ×3, first 2 shown]
	ds_write_b128 v52, v[16:19]
	ds_write_b128 v52, v[4:7] offset:16
	ds_write_b128 v52, v[8:11] offset:32
	ds_write_b128 v52, v[20:23] offset:48
	ds_write_b128 v52, v[28:31] offset:64
	ds_write_b128 v52, v[36:39] offset:80
	ds_write_b128 v52, v[44:47] offset:96
	ds_write_b128 v52, v[48:51] offset:112
	ds_write_b128 v52, v[40:43] offset:128
	ds_write_b128 v52, v[32:35] offset:144
	ds_write_b128 v52, v[24:27] offset:160
	ds_write_b128 v52, v[12:15] offset:176
	ds_write_b128 v52, v[0:3] offset:192
	s_waitcnt lgkmcnt(0)
	s_barrier
	buffer_gl0_inv
	ds_read_b128 v[8:11], v76
	ds_read_b128 v[32:35], v78 offset:208
	v_lshl_add_u32 v80, v64, 4, v75
	ds_read_b128 v[40:43], v78 offset:240
	ds_read_b128 v[36:39], v78 offset:272
	v_lshl_add_u32 v72, v59, 4, v75
	ds_read_b128 v[16:19], v79
	ds_read_b128 v[12:15], v74
	ds_read_b128 v[48:51], v78 offset:304
	ds_read_b128 v[44:47], v78 offset:336
	ds_read_b128 v[24:27], v73
	ds_read_b128 v[20:23], v72
	;; [unrolled: 1-line block ×3, first 2 shown]
	ds_read_b128 v[52:55], v78 offset:368
	v_cmp_ne_u32_e64 s1, 0, v56
	v_cmp_eq_u32_e64 s0, 0, v56
	v_mov_b32_e32 v69, 0
	v_mov_b32_e32 v70, 0
                                        ; implicit-def: $vgpr6_vgpr7
	s_and_saveexec_b32 s2, s0
	s_cbranch_execz .LBB0_6
; %bb.5:
	ds_read_b128 v[0:3], v75 offset:192
	ds_read_b128 v[4:7], v75 offset:400
	v_mov_b32_e32 v69, 12
	v_mov_b32_e32 v70, 0
.LBB0_6:
	s_or_b32 exec_lo, exec_lo, s2
	v_mov_b32_e32 v57, 0
	v_mov_b32_e32 v65, v57
	v_lshlrev_b64 v[70:71], 4, v[56:57]
	v_mov_b32_e32 v67, v57
	v_mov_b32_e32 v63, v57
	;; [unrolled: 1-line block ×3, first 2 shown]
	v_lshlrev_b64 v[64:65], 4, v[64:65]
	v_lshlrev_b64 v[81:82], 4, v[66:67]
	v_add_co_u32 v70, s2, s6, v70
	v_add_co_ci_u32_e64 v71, s2, s7, v71, s2
	v_add_co_u32 v67, s2, s6, v64
	v_lshlrev_b64 v[63:64], 4, v[62:63]
	v_lshlrev_b64 v[61:62], 4, v[60:61]
	v_mov_b32_e32 v60, v57
	v_add_co_ci_u32_e64 v68, s2, s7, v65, s2
	v_add_co_u32 v65, s2, s6, v81
	v_add_co_ci_u32_e64 v66, s2, s7, v82, s2
	v_add_co_u32 v63, s2, s6, v63
	v_lshlrev_b64 v[59:60], 4, v[59:60]
	v_add_co_ci_u32_e64 v64, s2, s7, v64, s2
	v_add_co_u32 v61, s2, s6, v61
	v_add_co_ci_u32_e64 v62, s2, s7, v62, s2
	s_clause 0x2
	global_load_dwordx4 v[81:84], v[70:71], off
	global_load_dwordx4 v[85:88], v[67:68], off
	;; [unrolled: 1-line block ×3, first 2 shown]
	v_add_co_u32 v59, s2, s6, v59
	v_add_co_ci_u32_e64 v60, s2, s7, v60, s2
	s_clause 0x2
	global_load_dwordx4 v[93:96], v[63:64], off
	global_load_dwordx4 v[97:100], v[61:62], off
	;; [unrolled: 1-line block ×3, first 2 shown]
	s_waitcnt vmcnt(0) lgkmcnt(0)
	s_barrier
	buffer_gl0_inv
	v_mul_f64 v[105:106], v[34:35], v[83:84]
	v_mul_f64 v[83:84], v[32:33], v[83:84]
	;; [unrolled: 1-line block ×12, first 2 shown]
	v_fma_f64 v[32:33], v[32:33], v[81:82], v[105:106]
	v_fma_f64 v[34:35], v[34:35], v[81:82], -v[83:84]
	v_fma_f64 v[40:41], v[40:41], v[85:86], v[107:108]
	v_fma_f64 v[42:43], v[42:43], v[85:86], -v[87:88]
	;; [unrolled: 2-line block ×6, first 2 shown]
	v_add_f64 v[32:33], v[8:9], -v[32:33]
	v_add_f64 v[34:35], v[10:11], -v[34:35]
	;; [unrolled: 1-line block ×12, first 2 shown]
	v_fma_f64 v[8:9], v[8:9], 2.0, -v[32:33]
	v_fma_f64 v[10:11], v[10:11], 2.0, -v[34:35]
	;; [unrolled: 1-line block ×12, first 2 shown]
	ds_write_b128 v78, v[32:35] offset:208
	ds_write_b128 v78, v[8:11]
	ds_write_b128 v80, v[36:39] offset:208
	ds_write_b128 v80, v[28:31]
	ds_write_b128 v79, v[16:19]
	ds_write_b128 v79, v[40:43] offset:208
	ds_write_b128 v74, v[12:15]
	ds_write_b128 v74, v[44:47] offset:208
	;; [unrolled: 2-line block ×4, first 2 shown]
	s_and_saveexec_b32 s2, s0
	s_cbranch_execz .LBB0_8
; %bb.7:
	v_lshlrev_b32_e32 v8, 4, v69
	global_load_dwordx4 v[8:11], v8, s[6:7]
	s_waitcnt vmcnt(0)
	v_mul_f64 v[12:13], v[4:5], v[10:11]
	v_mul_f64 v[10:11], v[6:7], v[10:11]
	v_fma_f64 v[6:7], v[6:7], v[8:9], -v[12:13]
	v_fma_f64 v[4:5], v[4:5], v[8:9], v[10:11]
	v_add_f64 v[6:7], v[2:3], -v[6:7]
	v_add_f64 v[4:5], v[0:1], -v[4:5]
	v_fma_f64 v[2:3], v[2:3], 2.0, -v[6:7]
	v_fma_f64 v[0:1], v[0:1], 2.0, -v[4:5]
	ds_write_b128 v75, v[0:3] offset:192
	ds_write_b128 v75, v[4:7] offset:400
.LBB0_8:
	s_or_b32 exec_lo, exec_lo, s2
	s_waitcnt lgkmcnt(0)
	s_barrier
	buffer_gl0_inv
	ds_read_b128 v[8:11], v76
	v_sub_nc_u32_e32 v12, v75, v77
                                        ; implicit-def: $vgpr2_vgpr3
                                        ; implicit-def: $vgpr6_vgpr7
	s_and_saveexec_b32 s2, s1
	s_xor_b32 s1, exec_lo, s2
	s_cbranch_execz .LBB0_10
; %bb.9:
	global_load_dwordx4 v[2:5], v[70:71], off offset:208
	ds_read_b128 v[13:16], v12 offset:416
	s_waitcnt lgkmcnt(0)
	v_add_f64 v[0:1], v[8:9], -v[13:14]
	v_add_f64 v[6:7], v[10:11], v[15:16]
	v_add_f64 v[10:11], v[10:11], -v[15:16]
	v_mul_f64 v[15:16], v[0:1], 0.5
	v_add_f64 v[0:1], v[8:9], v[13:14]
	v_mul_f64 v[8:9], v[6:7], 0.5
	v_mul_f64 v[6:7], v[10:11], 0.5
	s_waitcnt vmcnt(0)
	v_mul_f64 v[10:11], v[15:16], v[4:5]
	v_fma_f64 v[13:14], v[8:9], v[4:5], v[6:7]
	v_fma_f64 v[17:18], v[0:1], 0.5, v[10:11]
	v_fma_f64 v[0:1], v[0:1], 0.5, -v[10:11]
	v_fma_f64 v[10:11], v[8:9], v[4:5], -v[6:7]
	v_fma_f64 v[6:7], -v[2:3], v[15:16], v[13:14]
	v_fma_f64 v[4:5], v[8:9], v[2:3], v[17:18]
	v_fma_f64 v[0:1], -v[8:9], v[2:3], v[0:1]
	v_fma_f64 v[2:3], -v[2:3], v[15:16], v[10:11]
                                        ; implicit-def: $vgpr8_vgpr9
.LBB0_10:
	s_andn2_saveexec_b32 s1, s1
	s_cbranch_execz .LBB0_12
; %bb.11:
	ds_read_b64 v[13:14], v75 offset:216
	s_waitcnt lgkmcnt(1)
	v_add_f64 v[4:5], v[8:9], v[10:11]
	v_add_f64 v[0:1], v[8:9], -v[10:11]
	v_mov_b32_e32 v6, 0
	v_mov_b32_e32 v7, 0
	;; [unrolled: 1-line block ×4, first 2 shown]
	s_waitcnt lgkmcnt(0)
	v_xor_b32_e32 v14, 0x80000000, v14
	ds_write_b64 v75, v[13:14] offset:216
.LBB0_12:
	s_or_b32 exec_lo, exec_lo, s1
	s_waitcnt lgkmcnt(0)
	s_clause 0x1
	global_load_dwordx4 v[8:11], v[67:68], off offset:208
	global_load_dwordx4 v[13:16], v[65:66], off offset:208
	ds_write_b128 v76, v[4:7]
	ds_write_b128 v12, v[0:3] offset:416
	ds_read_b128 v[0:3], v80
	ds_read_b128 v[4:7], v12 offset:384
	global_load_dwordx4 v[17:20], v[63:64], off offset:208
	s_waitcnt lgkmcnt(0)
	v_add_f64 v[21:22], v[0:1], -v[4:5]
	v_add_f64 v[23:24], v[2:3], v[6:7]
	v_add_f64 v[2:3], v[2:3], -v[6:7]
	v_add_f64 v[0:1], v[0:1], v[4:5]
	v_mul_f64 v[6:7], v[21:22], 0.5
	v_mul_f64 v[21:22], v[23:24], 0.5
	v_mul_f64 v[2:3], v[2:3], 0.5
	s_waitcnt vmcnt(2)
	v_mul_f64 v[4:5], v[6:7], v[10:11]
	v_fma_f64 v[23:24], v[21:22], v[10:11], v[2:3]
	v_fma_f64 v[10:11], v[21:22], v[10:11], -v[2:3]
	v_fma_f64 v[25:26], v[0:1], 0.5, v[4:5]
	v_fma_f64 v[4:5], v[0:1], 0.5, -v[4:5]
	v_fma_f64 v[2:3], -v[8:9], v[6:7], v[23:24]
	v_fma_f64 v[6:7], -v[8:9], v[6:7], v[10:11]
	v_fma_f64 v[0:1], v[21:22], v[8:9], v[25:26]
	v_fma_f64 v[4:5], -v[21:22], v[8:9], v[4:5]
	ds_write_b128 v80, v[0:3]
	ds_write_b128 v12, v[4:7] offset:384
	ds_read_b128 v[0:3], v79
	ds_read_b128 v[4:7], v12 offset:352
	global_load_dwordx4 v[8:11], v[61:62], off offset:208
	s_waitcnt lgkmcnt(0)
	v_add_f64 v[21:22], v[0:1], -v[4:5]
	v_add_f64 v[23:24], v[2:3], v[6:7]
	v_add_f64 v[2:3], v[2:3], -v[6:7]
	v_add_f64 v[0:1], v[0:1], v[4:5]
	v_mul_f64 v[6:7], v[21:22], 0.5
	v_mul_f64 v[21:22], v[23:24], 0.5
	v_mul_f64 v[2:3], v[2:3], 0.5
	s_waitcnt vmcnt(2)
	v_mul_f64 v[4:5], v[6:7], v[15:16]
	v_fma_f64 v[23:24], v[21:22], v[15:16], v[2:3]
	v_fma_f64 v[15:16], v[21:22], v[15:16], -v[2:3]
	v_fma_f64 v[25:26], v[0:1], 0.5, v[4:5]
	v_fma_f64 v[4:5], v[0:1], 0.5, -v[4:5]
	v_fma_f64 v[2:3], -v[13:14], v[6:7], v[23:24]
	v_fma_f64 v[6:7], -v[13:14], v[6:7], v[15:16]
	v_fma_f64 v[0:1], v[21:22], v[13:14], v[25:26]
	v_fma_f64 v[4:5], -v[21:22], v[13:14], v[4:5]
	;; [unrolled: 23-line block ×3, first 2 shown]
	ds_write_b128 v74, v[0:3]
	ds_write_b128 v12, v[4:7] offset:320
	ds_read_b128 v[0:3], v73
	ds_read_b128 v[4:7], v12 offset:288
	s_waitcnt lgkmcnt(0)
	v_add_f64 v[17:18], v[0:1], -v[4:5]
	v_add_f64 v[19:20], v[2:3], v[6:7]
	v_add_f64 v[2:3], v[2:3], -v[6:7]
	v_add_f64 v[0:1], v[0:1], v[4:5]
	v_mul_f64 v[6:7], v[17:18], 0.5
	v_mul_f64 v[17:18], v[19:20], 0.5
	;; [unrolled: 1-line block ×3, first 2 shown]
	s_waitcnt vmcnt(1)
	v_mul_f64 v[4:5], v[6:7], v[10:11]
	v_fma_f64 v[19:20], v[17:18], v[10:11], v[2:3]
	v_fma_f64 v[10:11], v[17:18], v[10:11], -v[2:3]
	v_fma_f64 v[21:22], v[0:1], 0.5, v[4:5]
	v_fma_f64 v[4:5], v[0:1], 0.5, -v[4:5]
	v_fma_f64 v[2:3], -v[8:9], v[6:7], v[19:20]
	v_fma_f64 v[6:7], -v[8:9], v[6:7], v[10:11]
	v_fma_f64 v[0:1], v[17:18], v[8:9], v[21:22]
	v_fma_f64 v[4:5], -v[17:18], v[8:9], v[4:5]
	ds_write_b128 v73, v[0:3]
	ds_write_b128 v12, v[4:7] offset:288
	ds_read_b128 v[0:3], v72
	ds_read_b128 v[4:7], v12 offset:256
	s_waitcnt lgkmcnt(0)
	v_add_f64 v[8:9], v[0:1], -v[4:5]
	v_add_f64 v[10:11], v[2:3], v[6:7]
	v_add_f64 v[2:3], v[2:3], -v[6:7]
	v_add_f64 v[0:1], v[0:1], v[4:5]
	v_mul_f64 v[6:7], v[8:9], 0.5
	v_mul_f64 v[8:9], v[10:11], 0.5
	v_mul_f64 v[2:3], v[2:3], 0.5
	s_waitcnt vmcnt(0)
	v_mul_f64 v[4:5], v[6:7], v[15:16]
	v_fma_f64 v[10:11], v[8:9], v[15:16], v[2:3]
	v_fma_f64 v[15:16], v[8:9], v[15:16], -v[2:3]
	v_fma_f64 v[17:18], v[0:1], 0.5, v[4:5]
	v_fma_f64 v[4:5], v[0:1], 0.5, -v[4:5]
	v_fma_f64 v[2:3], -v[13:14], v[6:7], v[10:11]
	v_fma_f64 v[6:7], -v[13:14], v[6:7], v[15:16]
	v_fma_f64 v[0:1], v[8:9], v[13:14], v[17:18]
	v_fma_f64 v[4:5], -v[8:9], v[13:14], v[4:5]
	ds_write_b128 v72, v[0:3]
	ds_write_b128 v12, v[4:7] offset:256
	s_and_saveexec_b32 s1, s0
	s_cbranch_execz .LBB0_14
; %bb.13:
	ds_read_b128 v[0:3], v75 offset:192
	ds_read_b128 v[4:7], v75 offset:224
	s_load_dwordx4 s[12:15], s[6:7], 0x190
	s_waitcnt lgkmcnt(0)
	v_add_f64 v[8:9], v[0:1], -v[4:5]
	v_add_f64 v[10:11], v[2:3], v[6:7]
	v_add_f64 v[2:3], v[2:3], -v[6:7]
	v_add_f64 v[0:1], v[0:1], v[4:5]
	v_mul_f64 v[6:7], v[8:9], 0.5
	v_mul_f64 v[8:9], v[10:11], 0.5
	;; [unrolled: 1-line block ×3, first 2 shown]
	v_mul_f64 v[4:5], v[6:7], s[14:15]
	v_fma_f64 v[10:11], v[8:9], s[14:15], v[2:3]
	v_fma_f64 v[12:13], v[8:9], s[14:15], -v[2:3]
	v_fma_f64 v[14:15], v[0:1], 0.5, v[4:5]
	v_fma_f64 v[4:5], v[0:1], 0.5, -v[4:5]
	v_fma_f64 v[2:3], -s[12:13], v[6:7], v[10:11]
	v_fma_f64 v[6:7], -s[12:13], v[6:7], v[12:13]
	v_fma_f64 v[0:1], v[8:9], s[12:13], v[14:15]
	v_fma_f64 v[4:5], -v[8:9], s[12:13], v[4:5]
	ds_write_b128 v75, v[0:3] offset:192
	ds_write_b128 v75, v[4:7] offset:224
.LBB0_14:
	s_or_b32 exec_lo, exec_lo, s1
	s_waitcnt lgkmcnt(0)
	s_barrier
	buffer_gl0_inv
	s_and_saveexec_b32 s0, vcc_lo
	s_cbranch_execz .LBB0_17
; %bb.15:
	v_mad_u64_u32 v[0:1], null, s8, v58, 0
	s_load_dwordx2 s[0:1], s[4:5], 0x58
	v_mov_b32_e32 v57, 0
	v_add_nc_u32_e32 v19, 2, v56
	v_add_nc_u32_e32 v21, 4, v56
	;; [unrolled: 1-line block ×4, first 2 shown]
	v_mad_u64_u32 v[1:2], null, s9, v58, v[1:2]
	v_lshl_add_u32 v2, v56, 4, v75
	v_mov_b32_e32 v20, v57
	v_lshlrev_b64 v[27:28], 4, v[56:57]
	v_mov_b32_e32 v22, v57
	ds_read_b128 v[3:6], v2
	ds_read_b128 v[7:10], v2 offset:32
	v_lshlrev_b64 v[0:1], 4, v[0:1]
	ds_read_b128 v[11:14], v2 offset:64
	ds_read_b128 v[15:18], v2 offset:96
	v_lshlrev_b64 v[19:20], 4, v[19:20]
	v_mov_b32_e32 v24, v57
	v_lshlrev_b64 v[21:22], 4, v[21:22]
	v_mov_b32_e32 v26, v57
	s_waitcnt lgkmcnt(0)
	v_add_co_u32 v0, vcc_lo, s0, v0
	v_add_co_ci_u32_e32 v1, vcc_lo, s1, v1, vcc_lo
	v_lshlrev_b64 v[23:24], 4, v[23:24]
	v_add_co_u32 v27, vcc_lo, v0, v27
	v_add_co_ci_u32_e32 v28, vcc_lo, v1, v28, vcc_lo
	v_add_co_u32 v29, vcc_lo, v0, v19
	v_add_co_ci_u32_e32 v30, vcc_lo, v1, v20, vcc_lo
	;; [unrolled: 2-line block ×3, first 2 shown]
	global_store_dwordx4 v[27:28], v[3:6], off
	ds_read_b128 v[3:6], v2 offset:128
	ds_read_b128 v[19:22], v2 offset:160
	v_add_co_u32 v23, vcc_lo, v0, v23
	v_add_nc_u32_e32 v27, 10, v56
	v_mov_b32_e32 v28, v57
	v_add_co_ci_u32_e32 v24, vcc_lo, v1, v24, vcc_lo
	v_lshlrev_b64 v[25:26], 4, v[25:26]
	global_store_dwordx4 v[29:30], v[7:10], off
	global_store_dwordx4 v[31:32], v[11:14], off
	global_store_dwordx4 v[23:24], v[15:18], off
	v_lshlrev_b64 v[7:8], 4, v[27:28]
	v_add_nc_u32_e32 v11, 12, v56
	v_mov_b32_e32 v12, v57
	v_add_nc_u32_e32 v13, 14, v56
	v_add_co_u32 v9, vcc_lo, v0, v25
	v_add_co_ci_u32_e32 v10, vcc_lo, v1, v26, vcc_lo
	v_add_co_u32 v7, vcc_lo, v0, v7
	v_add_co_ci_u32_e32 v8, vcc_lo, v1, v8, vcc_lo
	s_waitcnt lgkmcnt(1)
	global_store_dwordx4 v[9:10], v[3:6], off
	v_mov_b32_e32 v14, v57
	v_lshlrev_b64 v[15:16], 4, v[11:12]
	s_waitcnt lgkmcnt(0)
	global_store_dwordx4 v[7:8], v[19:22], off
	ds_read_b128 v[3:6], v2 offset:192
	ds_read_b128 v[7:10], v2 offset:224
	v_add_nc_u32_e32 v19, 16, v56
	v_lshlrev_b64 v[17:18], 4, v[13:14]
	ds_read_b128 v[11:14], v2 offset:256
	v_mov_b32_e32 v20, v57
	v_add_co_u32 v15, vcc_lo, v0, v15
	v_add_co_ci_u32_e32 v16, vcc_lo, v1, v16, vcc_lo
	v_lshlrev_b64 v[19:20], 4, v[19:20]
	v_add_co_u32 v17, vcc_lo, v0, v17
	v_add_nc_u32_e32 v21, 18, v56
	v_mov_b32_e32 v22, v57
	v_add_co_ci_u32_e32 v18, vcc_lo, v1, v18, vcc_lo
	v_add_co_u32 v19, vcc_lo, v0, v19
	s_waitcnt lgkmcnt(2)
	global_store_dwordx4 v[15:16], v[3:6], off
	s_waitcnt lgkmcnt(1)
	global_store_dwordx4 v[17:18], v[7:10], off
	v_lshlrev_b64 v[7:8], 4, v[21:22]
	v_add_co_ci_u32_e32 v20, vcc_lo, v1, v20, vcc_lo
	v_add_nc_u32_e32 v9, 20, v56
	v_mov_b32_e32 v10, v57
	v_add_nc_u32_e32 v15, 22, v56
	s_waitcnt lgkmcnt(0)
	global_store_dwordx4 v[19:20], v[11:14], off
	v_mov_b32_e32 v16, v57
	v_add_co_u32 v19, vcc_lo, v0, v7
	ds_read_b128 v[3:6], v2 offset:288
	v_add_co_ci_u32_e32 v20, vcc_lo, v1, v8, vcc_lo
	v_lshlrev_b64 v[21:22], 4, v[9:10]
	ds_read_b128 v[7:10], v2 offset:320
	ds_read_b128 v[11:14], v2 offset:352
	v_add_nc_u32_e32 v25, 24, v56
	v_mov_b32_e32 v26, v57
	v_lshlrev_b64 v[23:24], 4, v[15:16]
	ds_read_b128 v[15:18], v2 offset:384
	v_add_co_u32 v21, vcc_lo, v0, v21
	v_lshlrev_b64 v[25:26], 4, v[25:26]
	v_add_co_ci_u32_e32 v22, vcc_lo, v1, v22, vcc_lo
	v_add_co_u32 v23, vcc_lo, v0, v23
	v_add_co_ci_u32_e32 v24, vcc_lo, v1, v24, vcc_lo
	v_add_co_u32 v25, vcc_lo, v0, v25
	v_add_co_ci_u32_e32 v26, vcc_lo, v1, v26, vcc_lo
	v_cmp_eq_u32_e32 vcc_lo, 1, v56
	s_waitcnt lgkmcnt(3)
	global_store_dwordx4 v[19:20], v[3:6], off
	s_waitcnt lgkmcnt(2)
	global_store_dwordx4 v[21:22], v[7:10], off
	;; [unrolled: 2-line block ×4, first 2 shown]
	s_and_b32 exec_lo, exec_lo, vcc_lo
	s_cbranch_execz .LBB0_17
; %bb.16:
	ds_read_b128 v[2:5], v2 offset:400
	s_waitcnt lgkmcnt(0)
	global_store_dwordx4 v[0:1], v[2:5], off offset:416
.LBB0_17:
	s_endpgm
	.section	.rodata,"a",@progbits
	.p2align	6, 0x0
	.amdhsa_kernel fft_rtc_back_len26_factors_13_2_wgs_64_tpt_2_dim1_dp_op_CI_CI_unitstride_sbrr_R2C_dirReg
		.amdhsa_group_segment_fixed_size 0
		.amdhsa_private_segment_fixed_size 0
		.amdhsa_kernarg_size 96
		.amdhsa_user_sgpr_count 6
		.amdhsa_user_sgpr_private_segment_buffer 1
		.amdhsa_user_sgpr_dispatch_ptr 0
		.amdhsa_user_sgpr_queue_ptr 0
		.amdhsa_user_sgpr_kernarg_segment_ptr 1
		.amdhsa_user_sgpr_dispatch_id 0
		.amdhsa_user_sgpr_flat_scratch_init 0
		.amdhsa_user_sgpr_private_segment_size 0
		.amdhsa_wavefront_size32 1
		.amdhsa_uses_dynamic_stack 0
		.amdhsa_system_sgpr_private_segment_wavefront_offset 0
		.amdhsa_system_sgpr_workgroup_id_x 1
		.amdhsa_system_sgpr_workgroup_id_y 0
		.amdhsa_system_sgpr_workgroup_id_z 0
		.amdhsa_system_sgpr_workgroup_info 0
		.amdhsa_system_vgpr_workitem_id 0
		.amdhsa_next_free_vgpr 147
		.amdhsa_next_free_sgpr 44
		.amdhsa_reserve_vcc 1
		.amdhsa_reserve_flat_scratch 0
		.amdhsa_float_round_mode_32 0
		.amdhsa_float_round_mode_16_64 0
		.amdhsa_float_denorm_mode_32 3
		.amdhsa_float_denorm_mode_16_64 3
		.amdhsa_dx10_clamp 1
		.amdhsa_ieee_mode 1
		.amdhsa_fp16_overflow 0
		.amdhsa_workgroup_processor_mode 1
		.amdhsa_memory_ordered 1
		.amdhsa_forward_progress 0
		.amdhsa_shared_vgpr_count 0
		.amdhsa_exception_fp_ieee_invalid_op 0
		.amdhsa_exception_fp_denorm_src 0
		.amdhsa_exception_fp_ieee_div_zero 0
		.amdhsa_exception_fp_ieee_overflow 0
		.amdhsa_exception_fp_ieee_underflow 0
		.amdhsa_exception_fp_ieee_inexact 0
		.amdhsa_exception_int_div_zero 0
	.end_amdhsa_kernel
	.text
.Lfunc_end0:
	.size	fft_rtc_back_len26_factors_13_2_wgs_64_tpt_2_dim1_dp_op_CI_CI_unitstride_sbrr_R2C_dirReg, .Lfunc_end0-fft_rtc_back_len26_factors_13_2_wgs_64_tpt_2_dim1_dp_op_CI_CI_unitstride_sbrr_R2C_dirReg
                                        ; -- End function
	.section	.AMDGPU.csdata,"",@progbits
; Kernel info:
; codeLenInByte = 7444
; NumSgprs: 46
; NumVgprs: 147
; ScratchSize: 0
; MemoryBound: 0
; FloatMode: 240
; IeeeMode: 1
; LDSByteSize: 0 bytes/workgroup (compile time only)
; SGPRBlocks: 5
; VGPRBlocks: 18
; NumSGPRsForWavesPerEU: 46
; NumVGPRsForWavesPerEU: 147
; Occupancy: 6
; WaveLimiterHint : 1
; COMPUTE_PGM_RSRC2:SCRATCH_EN: 0
; COMPUTE_PGM_RSRC2:USER_SGPR: 6
; COMPUTE_PGM_RSRC2:TRAP_HANDLER: 0
; COMPUTE_PGM_RSRC2:TGID_X_EN: 1
; COMPUTE_PGM_RSRC2:TGID_Y_EN: 0
; COMPUTE_PGM_RSRC2:TGID_Z_EN: 0
; COMPUTE_PGM_RSRC2:TIDIG_COMP_CNT: 0
	.text
	.p2alignl 6, 3214868480
	.fill 48, 4, 3214868480
	.type	__hip_cuid_7dc6e3bd201d9455,@object ; @__hip_cuid_7dc6e3bd201d9455
	.section	.bss,"aw",@nobits
	.globl	__hip_cuid_7dc6e3bd201d9455
__hip_cuid_7dc6e3bd201d9455:
	.byte	0                               ; 0x0
	.size	__hip_cuid_7dc6e3bd201d9455, 1

	.ident	"AMD clang version 19.0.0git (https://github.com/RadeonOpenCompute/llvm-project roc-6.4.0 25133 c7fe45cf4b819c5991fe208aaa96edf142730f1d)"
	.section	".note.GNU-stack","",@progbits
	.addrsig
	.addrsig_sym __hip_cuid_7dc6e3bd201d9455
	.amdgpu_metadata
---
amdhsa.kernels:
  - .args:
      - .actual_access:  read_only
        .address_space:  global
        .offset:         0
        .size:           8
        .value_kind:     global_buffer
      - .actual_access:  read_only
        .address_space:  global
        .offset:         8
        .size:           8
        .value_kind:     global_buffer
      - .actual_access:  read_only
        .address_space:  global
        .offset:         16
        .size:           8
        .value_kind:     global_buffer
      - .actual_access:  read_only
        .address_space:  global
        .offset:         24
        .size:           8
        .value_kind:     global_buffer
      - .offset:         32
        .size:           8
        .value_kind:     by_value
      - .actual_access:  read_only
        .address_space:  global
        .offset:         40
        .size:           8
        .value_kind:     global_buffer
      - .actual_access:  read_only
        .address_space:  global
        .offset:         48
        .size:           8
        .value_kind:     global_buffer
      - .offset:         56
        .size:           4
        .value_kind:     by_value
      - .actual_access:  read_only
        .address_space:  global
        .offset:         64
        .size:           8
        .value_kind:     global_buffer
      - .actual_access:  read_only
        .address_space:  global
        .offset:         72
        .size:           8
        .value_kind:     global_buffer
      - .actual_access:  read_only
        .address_space:  global
        .offset:         80
        .size:           8
        .value_kind:     global_buffer
      - .actual_access:  write_only
        .address_space:  global
        .offset:         88
        .size:           8
        .value_kind:     global_buffer
    .group_segment_fixed_size: 0
    .kernarg_segment_align: 8
    .kernarg_segment_size: 96
    .language:       OpenCL C
    .language_version:
      - 2
      - 0
    .max_flat_workgroup_size: 64
    .name:           fft_rtc_back_len26_factors_13_2_wgs_64_tpt_2_dim1_dp_op_CI_CI_unitstride_sbrr_R2C_dirReg
    .private_segment_fixed_size: 0
    .sgpr_count:     46
    .sgpr_spill_count: 0
    .symbol:         fft_rtc_back_len26_factors_13_2_wgs_64_tpt_2_dim1_dp_op_CI_CI_unitstride_sbrr_R2C_dirReg.kd
    .uniform_work_group_size: 1
    .uses_dynamic_stack: false
    .vgpr_count:     147
    .vgpr_spill_count: 0
    .wavefront_size: 32
    .workgroup_processor_mode: 1
amdhsa.target:   amdgcn-amd-amdhsa--gfx1030
amdhsa.version:
  - 1
  - 2
...

	.end_amdgpu_metadata
